;; amdgpu-corpus repo=ROCm/rocm-examples kind=compiled arch=gfx906 opt=O3
	.amdgcn_target "amdgcn-amd-amdhsa--gfx906"
	.amdhsa_code_object_version 6
	.text
	.protected	_Z20normalization_kernelPKtmPfm15HIP_vector_typeIjLj2EEt ; -- Begin function _Z20normalization_kernelPKtmPfm15HIP_vector_typeIjLj2EEt
	.globl	_Z20normalization_kernelPKtmPfm15HIP_vector_typeIjLj2EEt
	.p2align	8
	.type	_Z20normalization_kernelPKtmPfm15HIP_vector_typeIjLj2EEt,@function
_Z20normalization_kernelPKtmPfm15HIP_vector_typeIjLj2EEt: ; @_Z20normalization_kernelPKtmPfm15HIP_vector_typeIjLj2EEt
; %bb.0:
	s_load_dword s2, s[4:5], 0x3c
	s_load_dwordx4 s[16:19], s[4:5], 0x20
	s_add_u32 s0, s4, 48
	s_addc_u32 s1, s5, 0
	s_waitcnt lgkmcnt(0)
	s_lshr_b32 s2, s2, 16
	s_mul_i32 s7, s7, s2
	v_add_u32_e32 v6, s7, v1
	v_cmp_gt_u32_e32 vcc, s17, v6
	s_and_saveexec_b64 s[8:9], vcc
	s_cbranch_execz .LBB0_6
; %bb.1:
	s_load_dword s3, s[0:1], 0xc
	s_load_dwordx2 s[20:21], s[0:1], 0x0
	s_load_dwordx8 s[8:15], s[4:5], 0x0
	s_lshl_b32 s0, -1, s18
	s_not_b32 s4, s0
	s_waitcnt lgkmcnt(0)
	s_and_b32 s3, s3, 0xffff
	v_cvt_f32_u32_e32 v8, s4
	s_mul_i32 s6, s6, s3
	v_add_u32_e32 v7, s6, v0
	v_cmp_gt_u32_e64 s[0:1], s16, v7
	s_mul_i32 s20, s20, s3
	s_mul_i32 s21, s21, s2
	s_mov_b64 s[4:5], 0
	v_mov_b32_e32 v1, 0
	s_branch .LBB0_3
.LBB0_2:                                ;   in Loop: Header=BB0_3 Depth=1
	s_or_b64 exec, exec, s[6:7]
	v_add_u32_e32 v6, s21, v6
	v_cmp_le_u32_e32 vcc, s17, v6
	s_or_b64 s[4:5], vcc, s[4:5]
	s_andn2_b64 exec, exec, s[4:5]
	s_cbranch_execz .LBB0_6
.LBB0_3:                                ; =>This Loop Header: Depth=1
                                        ;     Child Loop BB0_5 Depth 2
	s_and_saveexec_b64 s[6:7], s[0:1]
	s_cbranch_execz .LBB0_2
; %bb.4:                                ;   in Loop: Header=BB0_3 Depth=1
	v_mov_b32_e32 v2, s8
	v_mov_b32_e32 v3, s9
	;; [unrolled: 1-line block ×3, first 2 shown]
	v_mad_u64_u32 v[2:3], s[2:3], s10, v6, v[2:3]
	v_mov_b32_e32 v5, s13
	v_mad_u64_u32 v[4:5], s[2:3], s14, v6, v[4:5]
	v_mov_b32_e32 v0, v3
	v_mad_u64_u32 v[9:10], s[2:3], s11, v6, v[0:1]
	v_mov_b32_e32 v0, v5
	v_mad_u64_u32 v[10:11], s[2:3], s15, v6, v[0:1]
	v_mov_b32_e32 v3, v9
	s_mov_b64 s[18:19], 0
	v_mov_b32_e32 v5, v10
	v_mov_b32_e32 v0, v7
.LBB0_5:                                ;   Parent Loop BB0_3 Depth=1
                                        ; =>  This Inner Loop Header: Depth=2
	v_lshlrev_b64 v[9:10], 1, v[0:1]
	v_add_co_u32_e32 v9, vcc, v2, v9
	v_addc_co_u32_e32 v10, vcc, v3, v10, vcc
	global_load_ushort v9, v[9:10], off
	s_waitcnt vmcnt(0)
	v_cvt_f32_u32_e32 v11, v9
	v_div_scale_f32 v9, s[2:3], v8, v8, v11
	v_div_scale_f32 v10, vcc, v11, v8, v11
	v_rcp_f32_e32 v12, v9
	v_fma_f32 v13, -v9, v12, 1.0
	v_fmac_f32_e32 v12, v13, v12
	v_mul_f32_e32 v13, v10, v12
	v_fma_f32 v14, -v9, v13, v10
	v_fmac_f32_e32 v13, v14, v12
	v_fma_f32 v9, -v9, v13, v10
	v_div_fmas_f32 v12, v9, v12, v13
	v_lshlrev_b64 v[9:10], 2, v[0:1]
	v_add_u32_e32 v0, s20, v0
	v_cmp_le_u32_e32 vcc, s16, v0
	v_add_co_u32_e64 v9, s[2:3], v4, v9
	v_addc_co_u32_e64 v10, s[2:3], v5, v10, s[2:3]
	s_or_b64 s[18:19], vcc, s[18:19]
	v_div_fixup_f32 v11, v12, v8, v11
	global_store_dword v[9:10], v11, off
	s_andn2_b64 exec, exec, s[18:19]
	s_cbranch_execnz .LBB0_5
	s_branch .LBB0_2
.LBB0_6:
	s_endpgm
	.section	.rodata,"a",@progbits
	.p2align	6, 0x0
	.amdhsa_kernel _Z20normalization_kernelPKtmPfm15HIP_vector_typeIjLj2EEt
		.amdhsa_group_segment_fixed_size 0
		.amdhsa_private_segment_fixed_size 0
		.amdhsa_kernarg_size 304
		.amdhsa_user_sgpr_count 6
		.amdhsa_user_sgpr_private_segment_buffer 1
		.amdhsa_user_sgpr_dispatch_ptr 0
		.amdhsa_user_sgpr_queue_ptr 0
		.amdhsa_user_sgpr_kernarg_segment_ptr 1
		.amdhsa_user_sgpr_dispatch_id 0
		.amdhsa_user_sgpr_flat_scratch_init 0
		.amdhsa_user_sgpr_private_segment_size 0
		.amdhsa_uses_dynamic_stack 0
		.amdhsa_system_sgpr_private_segment_wavefront_offset 0
		.amdhsa_system_sgpr_workgroup_id_x 1
		.amdhsa_system_sgpr_workgroup_id_y 1
		.amdhsa_system_sgpr_workgroup_id_z 0
		.amdhsa_system_sgpr_workgroup_info 0
		.amdhsa_system_vgpr_workitem_id 1
		.amdhsa_next_free_vgpr 15
		.amdhsa_next_free_sgpr 22
		.amdhsa_reserve_vcc 1
		.amdhsa_reserve_flat_scratch 0
		.amdhsa_float_round_mode_32 0
		.amdhsa_float_round_mode_16_64 0
		.amdhsa_float_denorm_mode_32 3
		.amdhsa_float_denorm_mode_16_64 3
		.amdhsa_dx10_clamp 1
		.amdhsa_ieee_mode 1
		.amdhsa_fp16_overflow 0
		.amdhsa_exception_fp_ieee_invalid_op 0
		.amdhsa_exception_fp_denorm_src 0
		.amdhsa_exception_fp_ieee_div_zero 0
		.amdhsa_exception_fp_ieee_overflow 0
		.amdhsa_exception_fp_ieee_underflow 0
		.amdhsa_exception_fp_ieee_inexact 0
		.amdhsa_exception_int_div_zero 0
	.end_amdhsa_kernel
	.text
.Lfunc_end0:
	.size	_Z20normalization_kernelPKtmPfm15HIP_vector_typeIjLj2EEt, .Lfunc_end0-_Z20normalization_kernelPKtmPfm15HIP_vector_typeIjLj2EEt
                                        ; -- End function
	.set _Z20normalization_kernelPKtmPfm15HIP_vector_typeIjLj2EEt.num_vgpr, 15
	.set _Z20normalization_kernelPKtmPfm15HIP_vector_typeIjLj2EEt.num_agpr, 0
	.set _Z20normalization_kernelPKtmPfm15HIP_vector_typeIjLj2EEt.numbered_sgpr, 22
	.set _Z20normalization_kernelPKtmPfm15HIP_vector_typeIjLj2EEt.num_named_barrier, 0
	.set _Z20normalization_kernelPKtmPfm15HIP_vector_typeIjLj2EEt.private_seg_size, 0
	.set _Z20normalization_kernelPKtmPfm15HIP_vector_typeIjLj2EEt.uses_vcc, 1
	.set _Z20normalization_kernelPKtmPfm15HIP_vector_typeIjLj2EEt.uses_flat_scratch, 0
	.set _Z20normalization_kernelPKtmPfm15HIP_vector_typeIjLj2EEt.has_dyn_sized_stack, 0
	.set _Z20normalization_kernelPKtmPfm15HIP_vector_typeIjLj2EEt.has_recursion, 0
	.set _Z20normalization_kernelPKtmPfm15HIP_vector_typeIjLj2EEt.has_indirect_call, 0
	.section	.AMDGPU.csdata,"",@progbits
; Kernel info:
; codeLenInByte = 404
; TotalNumSgprs: 26
; NumVgprs: 15
; ScratchSize: 0
; MemoryBound: 0
; FloatMode: 240
; IeeeMode: 1
; LDSByteSize: 0 bytes/workgroup (compile time only)
; SGPRBlocks: 3
; VGPRBlocks: 3
; NumSGPRsForWavesPerEU: 26
; NumVGPRsForWavesPerEU: 15
; Occupancy: 10
; WaveLimiterHint : 0
; COMPUTE_PGM_RSRC2:SCRATCH_EN: 0
; COMPUTE_PGM_RSRC2:USER_SGPR: 6
; COMPUTE_PGM_RSRC2:TRAP_HANDLER: 0
; COMPUTE_PGM_RSRC2:TGID_X_EN: 1
; COMPUTE_PGM_RSRC2:TGID_Y_EN: 1
; COMPUTE_PGM_RSRC2:TGID_Z_EN: 0
; COMPUTE_PGM_RSRC2:TIDIG_COMP_CNT: 1
	.section	.AMDGPU.gpr_maximums,"",@progbits
	.set amdgpu.max_num_vgpr, 0
	.set amdgpu.max_num_agpr, 0
	.set amdgpu.max_num_sgpr, 0
	.section	.AMDGPU.csdata,"",@progbits
	.type	__hip_cuid_3c187a9e9a923c,@object ; @__hip_cuid_3c187a9e9a923c
	.section	.bss,"aw",@nobits
	.globl	__hip_cuid_3c187a9e9a923c
__hip_cuid_3c187a9e9a923c:
	.byte	0                               ; 0x0
	.size	__hip_cuid_3c187a9e9a923c, 1

	.ident	"AMD clang version 22.0.0git (https://github.com/RadeonOpenCompute/llvm-project roc-7.2.4 26084 f58b06dce1f9c15707c5f808fd002e18c2accf7e)"
	.section	".note.GNU-stack","",@progbits
	.addrsig
	.addrsig_sym __hip_cuid_3c187a9e9a923c
	.amdgpu_metadata
---
amdhsa.kernels:
  - .args:
      - .actual_access:  read_only
        .address_space:  global
        .offset:         0
        .size:           8
        .value_kind:     global_buffer
      - .offset:         8
        .size:           8
        .value_kind:     by_value
      - .actual_access:  write_only
        .address_space:  global
        .offset:         16
        .size:           8
        .value_kind:     global_buffer
      - .offset:         24
        .size:           8
        .value_kind:     by_value
      - .offset:         32
        .size:           8
        .value_kind:     by_value
      - .offset:         40
        .size:           2
        .value_kind:     by_value
      - .offset:         48
        .size:           4
        .value_kind:     hidden_block_count_x
      - .offset:         52
        .size:           4
        .value_kind:     hidden_block_count_y
      - .offset:         56
        .size:           4
        .value_kind:     hidden_block_count_z
      - .offset:         60
        .size:           2
        .value_kind:     hidden_group_size_x
      - .offset:         62
        .size:           2
        .value_kind:     hidden_group_size_y
      - .offset:         64
        .size:           2
        .value_kind:     hidden_group_size_z
      - .offset:         66
        .size:           2
        .value_kind:     hidden_remainder_x
      - .offset:         68
        .size:           2
        .value_kind:     hidden_remainder_y
      - .offset:         70
        .size:           2
        .value_kind:     hidden_remainder_z
      - .offset:         88
        .size:           8
        .value_kind:     hidden_global_offset_x
      - .offset:         96
        .size:           8
        .value_kind:     hidden_global_offset_y
      - .offset:         104
        .size:           8
        .value_kind:     hidden_global_offset_z
      - .offset:         112
        .size:           2
        .value_kind:     hidden_grid_dims
    .group_segment_fixed_size: 0
    .kernarg_segment_align: 8
    .kernarg_segment_size: 304
    .language:       OpenCL C
    .language_version:
      - 2
      - 0
    .max_flat_workgroup_size: 1024
    .name:           _Z20normalization_kernelPKtmPfm15HIP_vector_typeIjLj2EEt
    .private_segment_fixed_size: 0
    .sgpr_count:     26
    .sgpr_spill_count: 0
    .symbol:         _Z20normalization_kernelPKtmPfm15HIP_vector_typeIjLj2EEt.kd
    .uniform_work_group_size: 1
    .uses_dynamic_stack: false
    .vgpr_count:     15
    .vgpr_spill_count: 0
    .wavefront_size: 64
amdhsa.target:   amdgcn-amd-amdhsa--gfx906
amdhsa.version:
  - 1
  - 2
...

	.end_amdgpu_metadata
